;; amdgpu-corpus repo=ROCm/rocFFT kind=compiled arch=gfx1030 opt=O3
	.text
	.amdgcn_target "amdgcn-amd-amdhsa--gfx1030"
	.amdhsa_code_object_version 6
	.protected	fft_rtc_fwd_len44_factors_11_4_wgs_64_tpt_4_halfLds_sp_op_CI_CI_unitstride_sbrr_C2R_dirReg ; -- Begin function fft_rtc_fwd_len44_factors_11_4_wgs_64_tpt_4_halfLds_sp_op_CI_CI_unitstride_sbrr_C2R_dirReg
	.globl	fft_rtc_fwd_len44_factors_11_4_wgs_64_tpt_4_halfLds_sp_op_CI_CI_unitstride_sbrr_C2R_dirReg
	.p2align	8
	.type	fft_rtc_fwd_len44_factors_11_4_wgs_64_tpt_4_halfLds_sp_op_CI_CI_unitstride_sbrr_C2R_dirReg,@function
fft_rtc_fwd_len44_factors_11_4_wgs_64_tpt_4_halfLds_sp_op_CI_CI_unitstride_sbrr_C2R_dirReg: ; @fft_rtc_fwd_len44_factors_11_4_wgs_64_tpt_4_halfLds_sp_op_CI_CI_unitstride_sbrr_C2R_dirReg
; %bb.0:
	s_clause 0x2
	s_load_dwordx4 s[12:15], s[4:5], 0x0
	s_load_dwordx4 s[8:11], s[4:5], 0x58
	;; [unrolled: 1-line block ×3, first 2 shown]
	v_lshrrev_b32_e32 v7, 2, v0
	v_mov_b32_e32 v3, 0
	v_mov_b32_e32 v1, 0
	;; [unrolled: 1-line block ×3, first 2 shown]
	v_lshl_or_b32 v5, s6, 4, v7
	v_mov_b32_e32 v6, v3
	s_waitcnt lgkmcnt(0)
	v_cmp_lt_u64_e64 s0, s[14:15], 2
	s_and_b32 vcc_lo, exec_lo, s0
	s_cbranch_vccnz .LBB0_8
; %bb.1:
	s_load_dwordx2 s[0:1], s[4:5], 0x10
	v_mov_b32_e32 v1, 0
	v_mov_b32_e32 v2, 0
	s_add_u32 s2, s18, 8
	s_addc_u32 s3, s19, 0
	s_add_u32 s6, s16, 8
	s_addc_u32 s7, s17, 0
	v_mov_b32_e32 v17, v2
	v_mov_b32_e32 v16, v1
	s_mov_b64 s[22:23], 1
	s_waitcnt lgkmcnt(0)
	s_add_u32 s20, s0, 8
	s_addc_u32 s21, s1, 0
.LBB0_2:                                ; =>This Inner Loop Header: Depth=1
	s_load_dwordx2 s[24:25], s[20:21], 0x0
                                        ; implicit-def: $vgpr20_vgpr21
	s_mov_b32 s0, exec_lo
	s_waitcnt lgkmcnt(0)
	v_or_b32_e32 v4, s25, v6
	v_cmpx_ne_u64_e32 0, v[3:4]
	s_xor_b32 s1, exec_lo, s0
	s_cbranch_execz .LBB0_4
; %bb.3:                                ;   in Loop: Header=BB0_2 Depth=1
	v_cvt_f32_u32_e32 v4, s24
	v_cvt_f32_u32_e32 v8, s25
	s_sub_u32 s0, 0, s24
	s_subb_u32 s26, 0, s25
	v_fmac_f32_e32 v4, 0x4f800000, v8
	v_rcp_f32_e32 v4, v4
	v_mul_f32_e32 v4, 0x5f7ffffc, v4
	v_mul_f32_e32 v8, 0x2f800000, v4
	v_trunc_f32_e32 v8, v8
	v_fmac_f32_e32 v4, 0xcf800000, v8
	v_cvt_u32_f32_e32 v8, v8
	v_cvt_u32_f32_e32 v4, v4
	v_mul_lo_u32 v9, s0, v8
	v_mul_hi_u32 v10, s0, v4
	v_mul_lo_u32 v11, s26, v4
	v_add_nc_u32_e32 v9, v10, v9
	v_mul_lo_u32 v10, s0, v4
	v_add_nc_u32_e32 v9, v9, v11
	v_mul_hi_u32 v11, v4, v10
	v_mul_lo_u32 v12, v4, v9
	v_mul_hi_u32 v13, v4, v9
	v_mul_hi_u32 v14, v8, v10
	v_mul_lo_u32 v10, v8, v10
	v_mul_hi_u32 v15, v8, v9
	v_mul_lo_u32 v9, v8, v9
	v_add_co_u32 v11, vcc_lo, v11, v12
	v_add_co_ci_u32_e32 v12, vcc_lo, 0, v13, vcc_lo
	v_add_co_u32 v10, vcc_lo, v11, v10
	v_add_co_ci_u32_e32 v10, vcc_lo, v12, v14, vcc_lo
	v_add_co_ci_u32_e32 v11, vcc_lo, 0, v15, vcc_lo
	v_add_co_u32 v9, vcc_lo, v10, v9
	v_add_co_ci_u32_e32 v10, vcc_lo, 0, v11, vcc_lo
	v_add_co_u32 v4, vcc_lo, v4, v9
	v_add_co_ci_u32_e32 v8, vcc_lo, v8, v10, vcc_lo
	v_mul_hi_u32 v9, s0, v4
	v_mul_lo_u32 v11, s26, v4
	v_mul_lo_u32 v10, s0, v8
	v_add_nc_u32_e32 v9, v9, v10
	v_mul_lo_u32 v10, s0, v4
	v_add_nc_u32_e32 v9, v9, v11
	v_mul_hi_u32 v11, v4, v10
	v_mul_lo_u32 v12, v4, v9
	v_mul_hi_u32 v13, v4, v9
	v_mul_hi_u32 v14, v8, v10
	v_mul_lo_u32 v10, v8, v10
	v_mul_hi_u32 v15, v8, v9
	v_mul_lo_u32 v9, v8, v9
	v_add_co_u32 v11, vcc_lo, v11, v12
	v_add_co_ci_u32_e32 v12, vcc_lo, 0, v13, vcc_lo
	v_add_co_u32 v10, vcc_lo, v11, v10
	v_add_co_ci_u32_e32 v10, vcc_lo, v12, v14, vcc_lo
	v_add_co_ci_u32_e32 v11, vcc_lo, 0, v15, vcc_lo
	v_add_co_u32 v9, vcc_lo, v10, v9
	v_add_co_ci_u32_e32 v10, vcc_lo, 0, v11, vcc_lo
	v_add_co_u32 v4, vcc_lo, v4, v9
	v_add_co_ci_u32_e32 v12, vcc_lo, v8, v10, vcc_lo
	v_mul_hi_u32 v14, v5, v4
	v_mad_u64_u32 v[10:11], null, v6, v4, 0
	v_mad_u64_u32 v[8:9], null, v5, v12, 0
	;; [unrolled: 1-line block ×3, first 2 shown]
	v_add_co_u32 v4, vcc_lo, v14, v8
	v_add_co_ci_u32_e32 v8, vcc_lo, 0, v9, vcc_lo
	v_add_co_u32 v4, vcc_lo, v4, v10
	v_add_co_ci_u32_e32 v4, vcc_lo, v8, v11, vcc_lo
	v_add_co_ci_u32_e32 v8, vcc_lo, 0, v13, vcc_lo
	v_add_co_u32 v4, vcc_lo, v4, v12
	v_add_co_ci_u32_e32 v10, vcc_lo, 0, v8, vcc_lo
	v_mul_lo_u32 v11, s25, v4
	v_mad_u64_u32 v[8:9], null, s24, v4, 0
	v_mul_lo_u32 v12, s24, v10
	v_sub_co_u32 v8, vcc_lo, v5, v8
	v_add3_u32 v9, v9, v12, v11
	v_sub_nc_u32_e32 v11, v6, v9
	v_subrev_co_ci_u32_e64 v11, s0, s25, v11, vcc_lo
	v_add_co_u32 v12, s0, v4, 2
	v_add_co_ci_u32_e64 v13, s0, 0, v10, s0
	v_sub_co_u32 v14, s0, v8, s24
	v_sub_co_ci_u32_e32 v9, vcc_lo, v6, v9, vcc_lo
	v_subrev_co_ci_u32_e64 v11, s0, 0, v11, s0
	v_cmp_le_u32_e32 vcc_lo, s24, v14
	v_cmp_eq_u32_e64 s0, s25, v9
	v_cndmask_b32_e64 v14, 0, -1, vcc_lo
	v_cmp_le_u32_e32 vcc_lo, s25, v11
	v_cndmask_b32_e64 v15, 0, -1, vcc_lo
	v_cmp_le_u32_e32 vcc_lo, s24, v8
	;; [unrolled: 2-line block ×3, first 2 shown]
	v_cndmask_b32_e64 v18, 0, -1, vcc_lo
	v_cmp_eq_u32_e32 vcc_lo, s25, v11
	v_cndmask_b32_e64 v8, v18, v8, s0
	v_cndmask_b32_e32 v11, v15, v14, vcc_lo
	v_add_co_u32 v14, vcc_lo, v4, 1
	v_add_co_ci_u32_e32 v15, vcc_lo, 0, v10, vcc_lo
	v_cmp_ne_u32_e32 vcc_lo, 0, v11
	v_cndmask_b32_e32 v9, v15, v13, vcc_lo
	v_cndmask_b32_e32 v11, v14, v12, vcc_lo
	v_cmp_ne_u32_e32 vcc_lo, 0, v8
	v_cndmask_b32_e32 v21, v10, v9, vcc_lo
	v_cndmask_b32_e32 v20, v4, v11, vcc_lo
.LBB0_4:                                ;   in Loop: Header=BB0_2 Depth=1
	s_andn2_saveexec_b32 s0, s1
	s_cbranch_execz .LBB0_6
; %bb.5:                                ;   in Loop: Header=BB0_2 Depth=1
	v_cvt_f32_u32_e32 v4, s24
	s_sub_i32 s1, 0, s24
	v_mov_b32_e32 v21, v3
	v_rcp_iflag_f32_e32 v4, v4
	v_mul_f32_e32 v4, 0x4f7ffffe, v4
	v_cvt_u32_f32_e32 v4, v4
	v_mul_lo_u32 v8, s1, v4
	v_mul_hi_u32 v8, v4, v8
	v_add_nc_u32_e32 v4, v4, v8
	v_mul_hi_u32 v4, v5, v4
	v_mul_lo_u32 v8, v4, s24
	v_add_nc_u32_e32 v9, 1, v4
	v_sub_nc_u32_e32 v8, v5, v8
	v_subrev_nc_u32_e32 v10, s24, v8
	v_cmp_le_u32_e32 vcc_lo, s24, v8
	v_cndmask_b32_e32 v8, v8, v10, vcc_lo
	v_cndmask_b32_e32 v4, v4, v9, vcc_lo
	v_cmp_le_u32_e32 vcc_lo, s24, v8
	v_add_nc_u32_e32 v9, 1, v4
	v_cndmask_b32_e32 v20, v4, v9, vcc_lo
.LBB0_6:                                ;   in Loop: Header=BB0_2 Depth=1
	s_or_b32 exec_lo, exec_lo, s0
	v_mul_lo_u32 v4, v21, s24
	v_mul_lo_u32 v10, v20, s25
	s_load_dwordx2 s[0:1], s[6:7], 0x0
	v_mad_u64_u32 v[8:9], null, v20, s24, 0
	s_load_dwordx2 s[24:25], s[2:3], 0x0
	s_add_u32 s22, s22, 1
	s_addc_u32 s23, s23, 0
	s_add_u32 s2, s2, 8
	s_addc_u32 s3, s3, 0
	s_add_u32 s6, s6, 8
	v_add3_u32 v4, v9, v10, v4
	v_sub_co_u32 v5, vcc_lo, v5, v8
	s_addc_u32 s7, s7, 0
	s_add_u32 s20, s20, 8
	v_sub_co_ci_u32_e32 v4, vcc_lo, v6, v4, vcc_lo
	s_addc_u32 s21, s21, 0
	s_waitcnt lgkmcnt(0)
	v_mul_lo_u32 v6, s0, v4
	v_mul_lo_u32 v8, s1, v5
	v_mad_u64_u32 v[1:2], null, s0, v5, v[1:2]
	v_mul_lo_u32 v4, s24, v4
	v_mul_lo_u32 v9, s25, v5
	v_mad_u64_u32 v[16:17], null, s24, v5, v[16:17]
	v_cmp_ge_u64_e64 s0, s[22:23], s[14:15]
	v_add3_u32 v2, v8, v2, v6
	v_add3_u32 v17, v9, v17, v4
	s_and_b32 vcc_lo, exec_lo, s0
	s_cbranch_vccnz .LBB0_9
; %bb.7:                                ;   in Loop: Header=BB0_2 Depth=1
	v_mov_b32_e32 v5, v20
	v_mov_b32_e32 v6, v21
	s_branch .LBB0_2
.LBB0_8:
	v_mov_b32_e32 v17, v2
	v_mov_b32_e32 v21, v6
	;; [unrolled: 1-line block ×4, first 2 shown]
.LBB0_9:
	s_load_dwordx2 s[0:1], s[4:5], 0x28
	s_lshl_b64 s[4:5], s[14:15], 3
	v_and_b32_e32 v18, 3, v0
	s_add_u32 s2, s18, s4
	s_addc_u32 s3, s19, s5
	s_waitcnt lgkmcnt(0)
	v_cmp_gt_u64_e32 vcc_lo, s[0:1], v[20:21]
	v_cmp_le_u64_e64 s0, s[0:1], v[20:21]
	s_and_saveexec_b32 s1, s0
	s_xor_b32 s0, exec_lo, s1
; %bb.10:
	v_and_b32_e32 v18, 3, v0
                                        ; implicit-def: $vgpr1_vgpr2
; %bb.11:
	s_or_saveexec_b32 s1, s0
	s_load_dwordx2 s[2:3], s[2:3], 0x0
	v_mul_u32_u24_e32 v4, 45, v7
	s_xor_b32 exec_lo, exec_lo, s1
	s_cbranch_execz .LBB0_15
; %bb.12:
	s_add_u32 s4, s16, s4
	s_addc_u32 s5, s17, s5
	v_lshlrev_b32_e32 v15, 3, v18
	s_load_dwordx2 s[4:5], s[4:5], 0x0
	s_waitcnt lgkmcnt(0)
	v_mul_lo_u32 v0, s5, v20
	v_mul_lo_u32 v3, s4, v21
	v_mad_u64_u32 v[5:6], null, s4, v20, 0
	s_mov_b32 s4, exec_lo
	v_add3_u32 v6, v6, v3, v0
	v_lshlrev_b64 v[0:1], 3, v[1:2]
	v_lshlrev_b64 v[5:6], 3, v[5:6]
	v_add_co_u32 v2, s0, s8, v5
	v_add_co_ci_u32_e64 v3, s0, s9, v6, s0
	v_add_co_u32 v0, s0, v2, v0
	v_add_co_ci_u32_e64 v1, s0, v3, v1, s0
	;; [unrolled: 2-line block ×3, first 2 shown]
	s_clause 0xa
	global_load_dwordx2 v[5:6], v[2:3], off
	global_load_dwordx2 v[7:8], v[2:3], off offset:32
	global_load_dwordx2 v[9:10], v[2:3], off offset:64
	;; [unrolled: 1-line block ×10, first 2 shown]
	v_lshlrev_b32_e32 v2, 3, v4
	v_add3_u32 v2, 0, v2, v15
	s_waitcnt vmcnt(9)
	ds_write2_b64 v2, v[5:6], v[7:8] offset1:4
	s_waitcnt vmcnt(7)
	ds_write2_b64 v2, v[9:10], v[11:12] offset0:8 offset1:12
	s_waitcnt vmcnt(5)
	ds_write2_b64 v2, v[13:14], v[22:23] offset0:16 offset1:20
	;; [unrolled: 2-line block ×4, first 2 shown]
	s_waitcnt vmcnt(0)
	ds_write_b64 v2, v[32:33] offset:320
	v_cmpx_eq_u32_e32 3, v18
	s_cbranch_execz .LBB0_14
; %bb.13:
	global_load_dwordx2 v[0:1], v[0:1], off offset:352
	v_mov_b32_e32 v18, 3
	s_waitcnt vmcnt(0)
	ds_write_b64 v2, v[0:1] offset:328
.LBB0_14:
	s_or_b32 exec_lo, exec_lo, s4
.LBB0_15:
	s_or_b32 exec_lo, exec_lo, s1
	v_lshl_add_u32 v30, v4, 3, 0
	v_lshlrev_b32_e32 v0, 3, v18
	s_waitcnt lgkmcnt(0)
	s_barrier
	buffer_gl0_inv
	s_mov_b32 s1, exec_lo
	v_add_nc_u32_e32 v24, v30, v0
	v_sub_nc_u32_e32 v5, v30, v0
                                        ; implicit-def: $vgpr0_vgpr1
	ds_read_b32 v6, v24
	ds_read_b32 v7, v5 offset:352
	s_waitcnt lgkmcnt(0)
	v_add_f32_e32 v2, v7, v6
	v_sub_f32_e32 v3, v6, v7
	v_cmpx_ne_u32_e32 0, v18
	s_xor_b32 s1, exec_lo, s1
	s_cbranch_execz .LBB0_17
; %bb.16:
	v_mov_b32_e32 v19, 0
	v_add_f32_e32 v8, v7, v6
	v_sub_f32_e32 v9, v6, v7
	v_lshlrev_b64 v[0:1], 3, v[18:19]
	v_add_co_u32 v0, s0, s12, v0
	v_add_co_ci_u32_e64 v1, s0, s13, v1, s0
	global_load_dwordx2 v[0:1], v[0:1], off offset:264
	ds_read_b32 v2, v5 offset:356
	ds_read_b32 v3, v24 offset:4
	s_waitcnt lgkmcnt(0)
	v_add_f32_e32 v10, v2, v3
	v_sub_f32_e32 v2, v3, v2
	s_waitcnt vmcnt(0)
	v_fma_f32 v6, -v9, v1, v8
	v_fma_f32 v7, v10, v1, -v2
	v_fma_f32 v11, v9, v1, v8
	v_fma_f32 v3, v10, v1, v2
	v_fmac_f32_e32 v6, v0, v10
	v_fmac_f32_e32 v7, v9, v0
	v_fma_f32 v2, -v0, v10, v11
	v_fmac_f32_e32 v3, v9, v0
	v_mov_b32_e32 v0, v18
	v_mov_b32_e32 v1, v19
	ds_write_b64 v5, v[6:7] offset:352
.LBB0_17:
	s_andn2_saveexec_b32 s0, s1
	s_cbranch_execz .LBB0_19
; %bb.18:
	ds_read_b64 v[0:1], v30 offset:176
	s_waitcnt lgkmcnt(0)
	v_add_f32_e32 v6, v0, v0
	v_mul_f32_e32 v7, -2.0, v1
	v_mov_b32_e32 v0, 0
	v_mov_b32_e32 v1, 0
	ds_write_b64 v30, v[6:7] offset:176
.LBB0_19:
	s_or_b32 exec_lo, exec_lo, s0
	v_lshlrev_b64 v[0:1], 3, v[0:1]
	s_add_u32 s0, s12, 0x108
	s_addc_u32 s1, s13, 0
	v_add_co_u32 v0, s0, s0, v0
	v_add_co_ci_u32_e64 v1, s0, s1, v1, s0
	s_mov_b32 s1, exec_lo
	s_clause 0x3
	global_load_dwordx2 v[6:7], v[0:1], off offset:32
	global_load_dwordx2 v[8:9], v[0:1], off offset:64
	;; [unrolled: 1-line block ×4, first 2 shown]
	ds_write_b64 v24, v[2:3]
	ds_read_b64 v[2:3], v24 offset:32
	ds_read_b64 v[14:15], v5 offset:320
	s_waitcnt lgkmcnt(0)
	v_add_f32_e32 v19, v2, v14
	v_add_f32_e32 v22, v15, v3
	v_sub_f32_e32 v23, v2, v14
	v_sub_f32_e32 v2, v3, v15
	s_waitcnt vmcnt(3)
	v_fma_f32 v25, v23, v7, v19
	v_fma_f32 v3, v22, v7, v2
	v_fma_f32 v14, -v23, v7, v19
	v_fma_f32 v15, v22, v7, -v2
	v_fma_f32 v2, -v6, v22, v25
	v_fmac_f32_e32 v3, v23, v6
	v_fmac_f32_e32 v14, v6, v22
	v_fmac_f32_e32 v15, v23, v6
	ds_write_b64 v24, v[2:3] offset:32
	ds_write_b64 v5, v[14:15] offset:320
	ds_read_b64 v[2:3], v24 offset:64
	ds_read_b64 v[6:7], v5 offset:288
	s_waitcnt lgkmcnt(0)
	v_add_f32_e32 v14, v2, v6
	v_add_f32_e32 v15, v7, v3
	v_sub_f32_e32 v19, v2, v6
	v_sub_f32_e32 v2, v3, v7
	s_waitcnt vmcnt(2)
	v_fma_f32 v22, v19, v9, v14
	v_fma_f32 v3, v15, v9, v2
	v_fma_f32 v6, -v19, v9, v14
	v_fma_f32 v7, v15, v9, -v2
	v_fma_f32 v2, -v8, v15, v22
	v_fmac_f32_e32 v3, v19, v8
	v_fmac_f32_e32 v6, v8, v15
	v_fmac_f32_e32 v7, v19, v8
	ds_write_b64 v24, v[2:3] offset:64
	ds_write_b64 v5, v[6:7] offset:288
	;; [unrolled: 18-line block ×3, first 2 shown]
	ds_read_b64 v[2:3], v24 offset:128
	ds_read_b64 v[6:7], v5 offset:224
	s_waitcnt lgkmcnt(0)
	v_add_f32_e32 v8, v2, v6
	v_add_f32_e32 v9, v7, v3
	v_sub_f32_e32 v10, v2, v6
	v_sub_f32_e32 v2, v3, v7
	s_waitcnt vmcnt(0)
	v_fma_f32 v11, v10, v13, v8
	v_fma_f32 v3, v9, v13, v2
	v_fma_f32 v6, -v10, v13, v8
	v_fma_f32 v7, v9, v13, -v2
	v_or_b32_e32 v8, 20, v18
	v_fma_f32 v2, -v12, v9, v11
	v_fmac_f32_e32 v3, v10, v12
	v_fmac_f32_e32 v6, v12, v9
	;; [unrolled: 1-line block ×3, first 2 shown]
	ds_write_b64 v24, v[2:3] offset:128
	ds_write_b64 v5, v[6:7] offset:224
	v_cmpx_gt_u32_e32 22, v8
	s_cbranch_execz .LBB0_21
; %bb.20:
	global_load_dwordx2 v[0:1], v[0:1], off offset:160
	ds_read_b64 v[2:3], v24 offset:160
	ds_read_b64 v[6:7], v5 offset:192
	s_waitcnt lgkmcnt(0)
	v_add_f32_e32 v8, v2, v6
	v_add_f32_e32 v9, v7, v3
	v_sub_f32_e32 v10, v2, v6
	v_sub_f32_e32 v3, v3, v7
	s_waitcnt vmcnt(0)
	v_fma_f32 v11, v10, v1, v8
	v_fma_f32 v2, v9, v1, v3
	v_fma_f32 v6, -v10, v1, v8
	v_fma_f32 v7, v9, v1, -v3
	v_fma_f32 v1, -v0, v9, v11
	v_fmac_f32_e32 v2, v10, v0
	v_fmac_f32_e32 v6, v0, v9
	;; [unrolled: 1-line block ×3, first 2 shown]
	ds_write_b64 v24, v[1:2] offset:160
	ds_write_b64 v5, v[6:7] offset:192
.LBB0_21:
	s_or_b32 exec_lo, exec_lo, s1
	v_lshl_add_u32 v0, v18, 3, 0
	s_waitcnt lgkmcnt(0)
	s_barrier
	buffer_gl0_inv
	v_lshl_add_u32 v19, v4, 3, v0
	s_barrier
	buffer_gl0_inv
	v_cmp_eq_u32_e64 s0, 3, v18
	ds_read_b64 v[22:23], v24
	ds_read2_b64 v[0:3], v19 offset0:4 offset1:8
	ds_read2_b64 v[4:7], v19 offset0:36 offset1:40
	;; [unrolled: 1-line block ×5, first 2 shown]
	s_waitcnt lgkmcnt(0)
	s_barrier
	buffer_gl0_inv
	v_cmp_ne_u32_e64 s1, 3, v18
	v_add_f32_e32 v29, v22, v0
	v_add_f32_e32 v31, v23, v1
	;; [unrolled: 1-line block ×3, first 2 shown]
	v_sub_f32_e32 v0, v0, v6
	v_sub_f32_e32 v33, v1, v7
	v_add_f32_e32 v29, v29, v2
	v_add_f32_e32 v31, v31, v3
	;; [unrolled: 1-line block ×3, first 2 shown]
	v_mul_f32_e32 v41, 0xbf4178ce, v0
	v_mul_f32_e32 v34, 0xbf0a6770, v33
	v_add_f32_e32 v29, v29, v8
	v_add_f32_e32 v31, v31, v9
	v_mul_f32_e32 v35, 0xbf0a6770, v0
	v_mul_f32_e32 v37, 0xbf68dda4, v0
	;; [unrolled: 1-line block ×3, first 2 shown]
	v_add_f32_e32 v29, v29, v10
	v_add_f32_e32 v31, v31, v11
	v_fmamk_f32 v49, v1, 0xbf27a4f4, v41
	v_mul_f32_e32 v0, 0xbe903f40, v0
	v_add_f32_e32 v51, v4, v2
	v_add_f32_e32 v29, v29, v12
	;; [unrolled: 1-line block ×3, first 2 shown]
	v_sub_f32_e32 v2, v2, v4
	v_mul_f32_e32 v36, 0xbf68dda4, v33
	v_mul_f32_e32 v38, 0xbf7d64f0, v33
	v_add_f32_e32 v29, v29, v14
	v_add_f32_e32 v31, v31, v15
	v_mul_f32_e32 v40, 0xbf4178ce, v33
	v_mul_f32_e32 v33, 0xbe903f40, v33
	v_fma_f32 v42, 0x3f575c64, v32, -v34
	v_add_f32_e32 v29, v29, v25
	v_add_f32_e32 v31, v31, v26
	v_fmamk_f32 v43, v1, 0x3f575c64, v35
	v_fma_f32 v35, 0x3f575c64, v1, -v35
	v_fmamk_f32 v45, v1, 0x3ed4b147, v37
	v_add_f32_e32 v29, v29, v27
	v_add_f32_e32 v31, v31, v28
	v_fma_f32 v37, 0x3ed4b147, v1, -v37
	v_fmamk_f32 v47, v1, 0xbe11bafb, v39
	v_fma_f32 v39, 0xbe11bafb, v1, -v39
	v_add_f32_e32 v29, v29, v4
	v_add_f32_e32 v31, v31, v5
	v_fmamk_f32 v50, v1, 0xbf75a155, v0
	v_fma_f32 v0, 0xbf75a155, v1, -v0
	v_mul_f32_e32 v4, 0xbf68dda4, v2
	v_add_f32_e32 v6, v29, v6
	v_fma_f32 v29, 0xbf27a4f4, v1, -v41
	v_sub_f32_e32 v41, v3, v5
	v_add_f32_e32 v1, v5, v3
	v_fmac_f32_e32 v34, 0x3f575c64, v32
	v_fma_f32 v44, 0x3ed4b147, v32, -v36
	v_fmac_f32_e32 v36, 0x3ed4b147, v32
	v_mul_f32_e32 v52, 0xbf68dda4, v41
	v_fma_f32 v46, 0xbe11bafb, v32, -v38
	v_fmac_f32_e32 v38, 0xbe11bafb, v32
	v_fma_f32 v48, 0xbf27a4f4, v32, -v40
	v_fmac_f32_e32 v40, 0xbf27a4f4, v32
	v_add_f32_e32 v42, v22, v42
	v_add_f32_e32 v43, v23, v43
	;; [unrolled: 1-line block ×9, first 2 shown]
	v_fma_f32 v31, 0xbf75a155, v32, -v33
	v_add_f32_e32 v29, v23, v29
	v_fmac_f32_e32 v33, 0xbf75a155, v32
	v_fma_f32 v3, 0x3ed4b147, v51, -v52
	v_add_f32_e32 v5, v23, v50
	v_add_f32_e32 v0, v23, v0
	v_fmamk_f32 v23, v1, 0x3ed4b147, v4
	v_mul_f32_e32 v32, 0xbf4178ce, v41
	v_add_f32_e32 v34, v22, v34
	v_add_f32_e32 v44, v22, v44
	;; [unrolled: 1-line block ×10, first 2 shown]
	v_fma_f32 v4, 0x3ed4b147, v1, -v4
	v_mul_f32_e32 v33, 0xbf4178ce, v2
	v_add_f32_e32 v23, v23, v43
	v_fma_f32 v42, 0xbf27a4f4, v51, -v32
	v_mul_f32_e32 v43, 0x3e903f40, v41
	v_fmac_f32_e32 v32, 0xbf27a4f4, v51
	v_add_f32_e32 v4, v4, v35
	v_fmamk_f32 v35, v1, 0xbf27a4f4, v33
	v_add_f32_e32 v42, v42, v44
	v_fma_f32 v33, 0xbf27a4f4, v1, -v33
	v_fma_f32 v44, 0xbf75a155, v51, -v43
	v_add_f32_e32 v32, v32, v36
	v_mul_f32_e32 v36, 0x3f7d64f0, v41
	v_add_f32_e32 v35, v35, v45
	v_mul_f32_e32 v45, 0x3e903f40, v2
	v_add_f32_e32 v33, v33, v37
	v_add_f32_e32 v37, v44, v46
	v_fmac_f32_e32 v43, 0xbf75a155, v51
	v_fma_f32 v46, 0xbe11bafb, v51, -v36
	v_mul_f32_e32 v50, 0x3f7d64f0, v2
	v_fmac_f32_e32 v36, 0xbe11bafb, v51
	v_fmamk_f32 v44, v1, 0xbf75a155, v45
	v_fma_f32 v45, 0xbf75a155, v1, -v45
	v_add_f32_e32 v38, v43, v38
	v_add_f32_e32 v43, v46, v48
	v_mul_f32_e32 v2, 0x3f0a6770, v2
	v_fma_f32 v46, 0xbe11bafb, v1, -v50
	v_add_f32_e32 v36, v36, v40
	v_sub_f32_e32 v40, v9, v28
	v_add_f32_e32 v39, v45, v39
	v_fmamk_f32 v45, v1, 0xbe11bafb, v50
	v_mul_f32_e32 v41, 0x3f0a6770, v41
	v_fmamk_f32 v48, v1, 0x3f575c64, v2
	v_add_f32_e32 v29, v46, v29
	v_add_f32_e32 v46, v27, v8
	v_sub_f32_e32 v8, v8, v27
	v_mul_f32_e32 v27, 0xbf7d64f0, v40
	v_fma_f32 v1, 0x3f575c64, v1, -v2
	v_add_f32_e32 v44, v44, v47
	v_fma_f32 v47, 0x3f575c64, v51, -v41
	v_fmac_f32_e32 v41, 0x3f575c64, v51
	v_add_f32_e32 v2, v28, v9
	v_mul_f32_e32 v9, 0xbf7d64f0, v8
	v_fma_f32 v28, 0xbe11bafb, v46, -v27
	v_add_f32_e32 v0, v1, v0
	v_mul_f32_e32 v1, 0x3e903f40, v40
	v_fmac_f32_e32 v52, 0x3ed4b147, v51
	v_add_f32_e32 v22, v41, v22
	v_fmamk_f32 v41, v2, 0xbe11bafb, v9
	v_add_f32_e32 v3, v28, v3
	v_fma_f32 v9, 0xbe11bafb, v2, -v9
	v_fma_f32 v28, 0xbf75a155, v46, -v1
	v_add_f32_e32 v34, v52, v34
	v_fmac_f32_e32 v27, 0xbe11bafb, v46
	v_add_f32_e32 v23, v41, v23
	v_mul_f32_e32 v41, 0x3e903f40, v8
	v_add_f32_e32 v4, v9, v4
	v_add_f32_e32 v9, v28, v42
	v_mul_f32_e32 v28, 0x3f68dda4, v40
	v_add_f32_e32 v31, v47, v31
	v_add_f32_e32 v27, v27, v34
	v_fmamk_f32 v34, v2, 0xbf75a155, v41
	v_fmac_f32_e32 v1, 0xbf75a155, v46
	v_fma_f32 v41, 0xbf75a155, v2, -v41
	v_mul_f32_e32 v42, 0x3f68dda4, v8
	v_fma_f32 v47, 0x3ed4b147, v46, -v28
	v_add_f32_e32 v34, v34, v35
	v_add_f32_e32 v1, v1, v32
	;; [unrolled: 1-line block ×3, first 2 shown]
	v_fmamk_f32 v33, v2, 0x3ed4b147, v42
	v_add_f32_e32 v35, v47, v37
	v_mul_f32_e32 v37, 0xbf0a6770, v40
	v_fmac_f32_e32 v28, 0x3ed4b147, v46
	v_fma_f32 v41, 0x3ed4b147, v2, -v42
	v_add_f32_e32 v33, v33, v44
	v_mul_f32_e32 v42, 0xbf0a6770, v8
	v_fma_f32 v44, 0x3f575c64, v46, -v37
	v_add_f32_e32 v28, v28, v38
	v_add_f32_e32 v38, v41, v39
	v_mul_f32_e32 v39, 0xbf4178ce, v40
	v_fmac_f32_e32 v37, 0x3f575c64, v46
	v_add_f32_e32 v41, v44, v43
	v_fmamk_f32 v40, v2, 0x3f575c64, v42
	v_fma_f32 v42, 0x3f575c64, v2, -v42
	v_fma_f32 v43, 0xbf27a4f4, v46, -v39
	v_mul_f32_e32 v8, 0xbf4178ce, v8
	v_add_f32_e32 v36, v37, v36
	v_sub_f32_e32 v37, v11, v26
	v_add_f32_e32 v29, v42, v29
	v_add_f32_e32 v31, v43, v31
	v_sub_f32_e32 v43, v10, v25
	v_fmamk_f32 v42, v2, 0xbf27a4f4, v8
	v_fmac_f32_e32 v39, 0xbf27a4f4, v46
	v_add_f32_e32 v10, v25, v10
	v_mul_f32_e32 v25, 0xbf4178ce, v37
	v_fma_f32 v2, 0xbf27a4f4, v2, -v8
	v_add_f32_e32 v8, v26, v11
	v_mul_f32_e32 v11, 0xbf4178ce, v43
	v_add_f32_e32 v22, v39, v22
	v_fma_f32 v26, 0xbf27a4f4, v10, -v25
	v_add_f32_e32 v0, v2, v0
	v_mul_f32_e32 v39, 0x3f7d64f0, v37
	v_fmamk_f32 v2, v8, 0xbf27a4f4, v11
	v_add_f32_e32 v5, v48, v5
	v_add_f32_e32 v3, v26, v3
	v_fma_f32 v11, 0xbf27a4f4, v8, -v11
	v_mul_f32_e32 v26, 0x3f7d64f0, v43
	v_add_f32_e32 v2, v2, v23
	v_fma_f32 v23, 0xbe11bafb, v10, -v39
	v_add_f32_e32 v5, v42, v5
	v_fmac_f32_e32 v25, 0xbf27a4f4, v10
	v_add_f32_e32 v11, v11, v4
	v_mul_f32_e32 v4, 0xbf0a6770, v37
	v_add_f32_e32 v9, v23, v9
	v_fmamk_f32 v23, v8, 0xbe11bafb, v26
	v_fmac_f32_e32 v39, 0xbe11bafb, v10
	v_fma_f32 v26, 0xbe11bafb, v8, -v26
	v_mul_f32_e32 v42, 0xbf0a6770, v43
	v_add_f32_e32 v45, v45, v49
	v_add_f32_e32 v25, v25, v27
	v_fma_f32 v27, 0x3f575c64, v10, -v4
	v_add_f32_e32 v34, v23, v34
	v_add_f32_e32 v1, v39, v1
	v_add_f32_e32 v26, v26, v32
	v_fmamk_f32 v23, v8, 0x3f575c64, v42
	v_mul_f32_e32 v32, 0xbe903f40, v37
	v_fmac_f32_e32 v4, 0x3f575c64, v10
	v_mul_f32_e32 v39, 0xbe903f40, v43
	v_add_f32_e32 v40, v40, v45
	v_add_f32_e32 v27, v27, v35
	v_fma_f32 v35, 0x3f575c64, v8, -v42
	v_add_f32_e32 v33, v23, v33
	v_fma_f32 v23, 0xbf75a155, v10, -v32
	v_add_f32_e32 v28, v4, v28
	v_fmamk_f32 v4, v8, 0xbf75a155, v39
	v_mul_f32_e32 v37, 0x3f68dda4, v37
	v_fmac_f32_e32 v32, 0xbf75a155, v10
	v_add_f32_e32 v35, v35, v38
	v_add_f32_e32 v38, v23, v41
	v_fma_f32 v23, 0xbf75a155, v8, -v39
	v_add_f32_e32 v39, v4, v40
	v_fma_f32 v4, 0x3ed4b147, v10, -v37
	v_mul_f32_e32 v40, 0x3f68dda4, v43
	v_add_f32_e32 v32, v32, v36
	v_sub_f32_e32 v36, v13, v15
	v_add_f32_e32 v41, v14, v12
	v_sub_f32_e32 v14, v12, v14
	v_add_f32_e32 v31, v4, v31
	v_fmamk_f32 v4, v8, 0x3ed4b147, v40
	v_mul_f32_e32 v12, 0xbe903f40, v36
	v_fmac_f32_e32 v37, 0x3ed4b147, v10
	v_fma_f32 v8, 0x3ed4b147, v8, -v40
	v_add_f32_e32 v40, v15, v13
	v_mul_f32_e32 v10, 0xbe903f40, v14
	v_fma_f32 v13, 0xbf75a155, v41, -v12
	v_add_f32_e32 v42, v4, v5
	v_add_f32_e32 v43, v8, v0
	v_fmac_f32_e32 v12, 0xbf75a155, v41
	v_fmamk_f32 v0, v40, 0xbf75a155, v10
	v_add_f32_e32 v4, v13, v3
	v_mul_f32_e32 v3, 0x3f0a6770, v36
	v_add_f32_e32 v37, v37, v22
	v_fma_f32 v8, 0xbf75a155, v40, -v10
	v_add_f32_e32 v5, v0, v2
	v_mul_f32_e32 v0, 0x3f0a6770, v14
	v_fma_f32 v2, 0x3f575c64, v41, -v3
	v_add_f32_e32 v22, v12, v25
	v_mul_f32_e32 v12, 0xbf4178ce, v36
	v_fmac_f32_e32 v3, 0x3f575c64, v41
	v_fmamk_f32 v10, v40, 0x3f575c64, v0
	v_fma_f32 v0, 0x3f575c64, v40, -v0
	v_mul_f32_e32 v13, 0xbf4178ce, v14
	v_add_f32_e32 v29, v23, v29
	v_add_f32_e32 v23, v8, v11
	;; [unrolled: 1-line block ×3, first 2 shown]
	v_fma_f32 v11, 0xbf27a4f4, v41, -v12
	v_add_f32_e32 v2, v3, v1
	v_add_f32_e32 v3, v0, v26
	v_mul_f32_e32 v15, 0x3f68dda4, v36
	v_fmamk_f32 v0, v40, 0xbf27a4f4, v13
	v_fmac_f32_e32 v12, 0xbf27a4f4, v41
	v_mul_f32_e32 v25, 0x3f68dda4, v14
	v_add_f32_e32 v9, v10, v34
	v_add_f32_e32 v10, v11, v27
	v_fma_f32 v1, 0xbf27a4f4, v40, -v13
	v_fma_f32 v13, 0x3ed4b147, v41, -v15
	v_add_f32_e32 v11, v0, v33
	v_add_f32_e32 v0, v12, v28
	v_fmamk_f32 v26, v40, 0x3ed4b147, v25
	v_fmac_f32_e32 v15, 0x3ed4b147, v41
	v_mul_f32_e32 v27, 0xbf7d64f0, v36
	v_mul_f32_e32 v28, 0xbf7d64f0, v14
	v_fma_f32 v25, 0x3ed4b147, v40, -v25
	v_add_f32_e32 v12, v13, v38
	v_add_f32_e32 v13, v26, v39
	;; [unrolled: 1-line block ×3, first 2 shown]
	v_fma_f32 v26, 0xbe11bafb, v41, -v27
	v_fmamk_f32 v32, v40, 0xbe11bafb, v28
	v_fmac_f32_e32 v27, 0xbe11bafb, v41
	v_fma_f32 v28, 0xbe11bafb, v40, -v28
	v_add_f32_e32 v15, v25, v29
	v_mad_u32_u24 v29, 0x50, v18, v19
	v_add_f32_e32 v25, v26, v31
	v_add_f32_e32 v26, v32, v42
	;; [unrolled: 1-line block ×5, first 2 shown]
	ds_write2_b64 v29, v[6:7], v[4:5] offset1:1
	ds_write2_b64 v29, v[8:9], v[10:11] offset0:2 offset1:3
	ds_write2_b64 v29, v[12:13], v[25:26] offset0:4 offset1:5
	;; [unrolled: 1-line block ×4, first 2 shown]
	ds_write_b64 v29, v[22:23] offset:80
	s_waitcnt lgkmcnt(0)
	s_barrier
	buffer_gl0_inv
	ds_read2_b64 v[4:7], v19 offset0:4 offset1:11
	ds_read2_b64 v[8:11], v19 offset0:15 offset1:22
	;; [unrolled: 1-line block ×3, first 2 shown]
	ds_read_b64 v[26:27], v24
	ds_read_b64 v[28:29], v19 offset:296
                                        ; implicit-def: $vgpr25
	s_and_saveexec_b32 s4, s1
	s_cbranch_execz .LBB0_23
; %bb.22:
	ds_read2_b64 v[0:3], v19 offset0:8 offset1:19
	ds_read2_b32 v[22:23], v19 offset0:60 offset1:61
	ds_read_b64 v[24:25], v19 offset:328
.LBB0_23:
	s_or_b32 exec_lo, exec_lo, s4
	v_mul_u32_u24_e32 v31, 3, v18
	v_lshlrev_b32_e32 v42, 3, v31
	s_clause 0x3
	global_load_dwordx4 v[32:35], v42, s[12:13]
	global_load_dwordx2 v[40:41], v42, s[12:13] offset:16
	global_load_dwordx4 v[36:39], v42, s[12:13] offset:96
	global_load_dwordx2 v[42:43], v42, s[12:13] offset:112
	s_waitcnt vmcnt(0) lgkmcnt(0)
	s_barrier
	buffer_gl0_inv
	v_mul_f32_e32 v44, v33, v7
	v_mul_f32_e32 v33, v33, v6
	;; [unrolled: 1-line block ×12, first 2 shown]
	v_fma_f32 v6, v32, v6, -v44
	v_fmac_f32_e32 v33, v32, v7
	v_fma_f32 v7, v34, v10, -v45
	v_fmac_f32_e32 v35, v34, v11
	;; [unrolled: 2-line block ×6, first 2 shown]
	v_sub_f32_e32 v12, v26, v7
	v_sub_f32_e32 v13, v27, v35
	;; [unrolled: 1-line block ×8, first 2 shown]
	v_fma_f32 v26, v26, 2.0, -v12
	v_fma_f32 v27, v27, 2.0, -v13
	;; [unrolled: 1-line block ×4, first 2 shown]
	v_sub_f32_e32 v6, v12, v10
	v_add_f32_e32 v7, v13, v7
	v_fma_f32 v32, v4, 2.0, -v14
	v_fma_f32 v33, v5, 2.0, -v15
	;; [unrolled: 1-line block ×4, first 2 shown]
	v_sub_f32_e32 v4, v14, v11
	v_add_f32_e32 v5, v15, v9
	v_sub_f32_e32 v8, v26, v28
	v_sub_f32_e32 v9, v27, v29
	v_fma_f32 v10, v12, 2.0, -v6
	v_fma_f32 v11, v13, 2.0, -v7
	v_sub_f32_e32 v12, v32, v34
	v_sub_f32_e32 v13, v33, v35
	v_fma_f32 v14, v14, 2.0, -v4
	v_fma_f32 v15, v15, 2.0, -v5
	;; [unrolled: 1-line block ×6, first 2 shown]
	ds_write_b64 v19, v[6:7] offset:264
	ds_write2_b64 v19, v[10:11], v[8:9] offset0:11 offset1:22
	ds_write2_b64 v19, v[14:15], v[12:13] offset0:15 offset1:26
	ds_write2_b64 v19, v[26:27], v[28:29] offset1:4
	ds_write_b64 v19, v[4:5] offset:296
	s_and_saveexec_b32 s4, s1
	s_cbranch_execz .LBB0_25
; %bb.24:
	v_add_nc_u32_e32 v4, 24, v31
	v_cndmask_b32_e64 v4, v4, 0, s0
	v_lshlrev_b32_e32 v8, 3, v4
	s_clause 0x1
	global_load_dwordx4 v[4:7], v8, s[12:13]
	global_load_dwordx2 v[8:9], v8, s[12:13] offset:16
	s_waitcnt vmcnt(1)
	v_mul_f32_e32 v10, v22, v7
	v_mul_f32_e32 v11, v3, v5
	s_waitcnt vmcnt(0)
	v_mul_f32_e32 v12, v25, v9
	v_mul_f32_e32 v5, v2, v5
	;; [unrolled: 1-line block ×4, first 2 shown]
	v_fmac_f32_e32 v10, v23, v6
	v_fma_f32 v2, v2, v4, -v11
	v_fmac_f32_e32 v5, v3, v4
	v_fmac_f32_e32 v9, v25, v8
	v_fma_f32 v3, v22, v6, -v7
	v_fma_f32 v4, v24, v8, -v12
	v_sub_f32_e32 v6, v1, v10
	v_sub_f32_e32 v7, v5, v9
	;; [unrolled: 1-line block ×4, first 2 shown]
	v_fma_f32 v9, v1, 2.0, -v6
	v_fma_f32 v4, v5, 2.0, -v7
	;; [unrolled: 1-line block ×4, first 2 shown]
	v_add_f32_e32 v1, v6, v3
	v_sub_f32_e32 v0, v8, v7
	v_sub_f32_e32 v3, v9, v4
	;; [unrolled: 1-line block ×3, first 2 shown]
	v_fma_f32 v5, v6, 2.0, -v1
	v_fma_f32 v4, v8, 2.0, -v0
	;; [unrolled: 1-line block ×4, first 2 shown]
	ds_write2_b64 v19, v[6:7], v[4:5] offset0:8 offset1:19
	ds_write2_b64 v19, v[2:3], v[0:1] offset0:30 offset1:41
.LBB0_25:
	s_or_b32 exec_lo, exec_lo, s4
	s_waitcnt lgkmcnt(0)
	s_barrier
	buffer_gl0_inv
	s_and_saveexec_b32 s0, vcc_lo
	s_cbranch_execz .LBB0_27
; %bb.26:
	v_mul_lo_u32 v2, s3, v20
	v_mul_lo_u32 v3, s2, v21
	v_mad_u64_u32 v[0:1], null, s2, v20, 0
	v_lshl_add_u32 v20, v18, 3, v30
	v_lshlrev_b64 v[8:9], 3, v[16:17]
	v_mov_b32_e32 v19, 0
	v_add_nc_u32_e32 v10, 4, v18
	v_add_nc_u32_e32 v12, 8, v18
	ds_read2_b64 v[4:7], v20 offset0:8 offset1:12
	v_add3_u32 v1, v1, v3, v2
	v_mov_b32_e32 v11, v19
	v_lshlrev_b64 v[14:15], 3, v[18:19]
	v_mov_b32_e32 v13, v19
	v_lshlrev_b64 v[16:17], 3, v[0:1]
	ds_read2_b64 v[0:3], v20 offset1:4
	v_lshlrev_b64 v[10:11], 3, v[10:11]
	v_add_co_u32 v16, vcc_lo, s10, v16
	v_add_co_ci_u32_e32 v17, vcc_lo, s11, v17, vcc_lo
	v_add_co_u32 v21, vcc_lo, v16, v8
	v_add_co_ci_u32_e32 v22, vcc_lo, v17, v9, vcc_lo
	v_lshlrev_b64 v[8:9], 3, v[12:13]
	v_add_co_u32 v12, vcc_lo, v21, v14
	v_add_co_ci_u32_e32 v13, vcc_lo, v22, v15, vcc_lo
	v_add_co_u32 v10, vcc_lo, v21, v10
	v_add_co_ci_u32_e32 v11, vcc_lo, v22, v11, vcc_lo
	s_waitcnt lgkmcnt(0)
	global_store_dwordx2 v[12:13], v[0:1], off
	v_add_co_u32 v0, vcc_lo, v21, v8
	v_add_co_ci_u32_e32 v1, vcc_lo, v22, v9, vcc_lo
	v_add_nc_u32_e32 v8, 12, v18
	v_mov_b32_e32 v9, v19
	global_store_dwordx2 v[10:11], v[2:3], off
	global_store_dwordx2 v[0:1], v[4:5], off
	v_add_nc_u32_e32 v12, 16, v18
	v_mov_b32_e32 v13, v19
	ds_read2_b64 v[0:3], v20 offset0:16 offset1:20
	v_lshlrev_b64 v[4:5], 3, v[8:9]
	v_add_nc_u32_e32 v10, 20, v18
	v_mov_b32_e32 v11, v19
	v_lshlrev_b64 v[8:9], 3, v[12:13]
	v_add_nc_u32_e32 v12, 24, v18
	v_add_nc_u32_e32 v14, 36, v18
	v_add_co_u32 v4, vcc_lo, v21, v4
	v_lshlrev_b64 v[10:11], 3, v[10:11]
	v_add_co_ci_u32_e32 v5, vcc_lo, v22, v5, vcc_lo
	v_add_co_u32 v8, vcc_lo, v21, v8
	v_add_co_ci_u32_e32 v9, vcc_lo, v22, v9, vcc_lo
	v_add_co_u32 v10, vcc_lo, v21, v10
	v_add_co_ci_u32_e32 v11, vcc_lo, v22, v11, vcc_lo
	global_store_dwordx2 v[4:5], v[6:7], off
	s_waitcnt lgkmcnt(0)
	global_store_dwordx2 v[8:9], v[0:1], off
	global_store_dwordx2 v[10:11], v[2:3], off
	v_lshlrev_b64 v[4:5], 3, v[12:13]
	v_add_nc_u32_e32 v6, 28, v18
	v_mov_b32_e32 v7, v19
	ds_read2_b64 v[0:3], v20 offset0:24 offset1:28
	v_add_nc_u32_e32 v8, 32, v18
	v_mov_b32_e32 v9, v19
	v_add_co_u32 v10, vcc_lo, v21, v4
	v_add_co_ci_u32_e32 v11, vcc_lo, v22, v5, vcc_lo
	v_lshlrev_b64 v[12:13], 3, v[6:7]
	ds_read2_b64 v[4:7], v20 offset0:32 offset1:36
	v_mov_b32_e32 v15, v19
	ds_read_b64 v[16:17], v20 offset:320
	v_lshlrev_b64 v[8:9], 3, v[8:9]
	v_add_nc_u32_e32 v18, 40, v18
	v_add_co_u32 v12, vcc_lo, v21, v12
	v_lshlrev_b64 v[14:15], 3, v[14:15]
	v_add_co_ci_u32_e32 v13, vcc_lo, v22, v13, vcc_lo
	v_add_co_u32 v8, vcc_lo, v21, v8
	v_lshlrev_b64 v[18:19], 3, v[18:19]
	v_add_co_ci_u32_e32 v9, vcc_lo, v22, v9, vcc_lo
	v_add_co_u32 v14, vcc_lo, v21, v14
	v_add_co_ci_u32_e32 v15, vcc_lo, v22, v15, vcc_lo
	v_add_co_u32 v18, vcc_lo, v21, v18
	v_add_co_ci_u32_e32 v19, vcc_lo, v22, v19, vcc_lo
	s_waitcnt lgkmcnt(2)
	global_store_dwordx2 v[10:11], v[0:1], off
	global_store_dwordx2 v[12:13], v[2:3], off
	s_waitcnt lgkmcnt(1)
	global_store_dwordx2 v[8:9], v[4:5], off
	global_store_dwordx2 v[14:15], v[6:7], off
	s_waitcnt lgkmcnt(0)
	global_store_dwordx2 v[18:19], v[16:17], off
.LBB0_27:
	s_endpgm
	.section	.rodata,"a",@progbits
	.p2align	6, 0x0
	.amdhsa_kernel fft_rtc_fwd_len44_factors_11_4_wgs_64_tpt_4_halfLds_sp_op_CI_CI_unitstride_sbrr_C2R_dirReg
		.amdhsa_group_segment_fixed_size 0
		.amdhsa_private_segment_fixed_size 0
		.amdhsa_kernarg_size 104
		.amdhsa_user_sgpr_count 6
		.amdhsa_user_sgpr_private_segment_buffer 1
		.amdhsa_user_sgpr_dispatch_ptr 0
		.amdhsa_user_sgpr_queue_ptr 0
		.amdhsa_user_sgpr_kernarg_segment_ptr 1
		.amdhsa_user_sgpr_dispatch_id 0
		.amdhsa_user_sgpr_flat_scratch_init 0
		.amdhsa_user_sgpr_private_segment_size 0
		.amdhsa_wavefront_size32 1
		.amdhsa_uses_dynamic_stack 0
		.amdhsa_system_sgpr_private_segment_wavefront_offset 0
		.amdhsa_system_sgpr_workgroup_id_x 1
		.amdhsa_system_sgpr_workgroup_id_y 0
		.amdhsa_system_sgpr_workgroup_id_z 0
		.amdhsa_system_sgpr_workgroup_info 0
		.amdhsa_system_vgpr_workitem_id 0
		.amdhsa_next_free_vgpr 53
		.amdhsa_next_free_sgpr 27
		.amdhsa_reserve_vcc 1
		.amdhsa_reserve_flat_scratch 0
		.amdhsa_float_round_mode_32 0
		.amdhsa_float_round_mode_16_64 0
		.amdhsa_float_denorm_mode_32 3
		.amdhsa_float_denorm_mode_16_64 3
		.amdhsa_dx10_clamp 1
		.amdhsa_ieee_mode 1
		.amdhsa_fp16_overflow 0
		.amdhsa_workgroup_processor_mode 1
		.amdhsa_memory_ordered 1
		.amdhsa_forward_progress 0
		.amdhsa_shared_vgpr_count 0
		.amdhsa_exception_fp_ieee_invalid_op 0
		.amdhsa_exception_fp_denorm_src 0
		.amdhsa_exception_fp_ieee_div_zero 0
		.amdhsa_exception_fp_ieee_overflow 0
		.amdhsa_exception_fp_ieee_underflow 0
		.amdhsa_exception_fp_ieee_inexact 0
		.amdhsa_exception_int_div_zero 0
	.end_amdhsa_kernel
	.text
.Lfunc_end0:
	.size	fft_rtc_fwd_len44_factors_11_4_wgs_64_tpt_4_halfLds_sp_op_CI_CI_unitstride_sbrr_C2R_dirReg, .Lfunc_end0-fft_rtc_fwd_len44_factors_11_4_wgs_64_tpt_4_halfLds_sp_op_CI_CI_unitstride_sbrr_C2R_dirReg
                                        ; -- End function
	.section	.AMDGPU.csdata,"",@progbits
; Kernel info:
; codeLenInByte = 5880
; NumSgprs: 29
; NumVgprs: 53
; ScratchSize: 0
; MemoryBound: 0
; FloatMode: 240
; IeeeMode: 1
; LDSByteSize: 0 bytes/workgroup (compile time only)
; SGPRBlocks: 3
; VGPRBlocks: 6
; NumSGPRsForWavesPerEU: 29
; NumVGPRsForWavesPerEU: 53
; Occupancy: 16
; WaveLimiterHint : 1
; COMPUTE_PGM_RSRC2:SCRATCH_EN: 0
; COMPUTE_PGM_RSRC2:USER_SGPR: 6
; COMPUTE_PGM_RSRC2:TRAP_HANDLER: 0
; COMPUTE_PGM_RSRC2:TGID_X_EN: 1
; COMPUTE_PGM_RSRC2:TGID_Y_EN: 0
; COMPUTE_PGM_RSRC2:TGID_Z_EN: 0
; COMPUTE_PGM_RSRC2:TIDIG_COMP_CNT: 0
	.text
	.p2alignl 6, 3214868480
	.fill 48, 4, 3214868480
	.type	__hip_cuid_aaa107c4768e0ea8,@object ; @__hip_cuid_aaa107c4768e0ea8
	.section	.bss,"aw",@nobits
	.globl	__hip_cuid_aaa107c4768e0ea8
__hip_cuid_aaa107c4768e0ea8:
	.byte	0                               ; 0x0
	.size	__hip_cuid_aaa107c4768e0ea8, 1

	.ident	"AMD clang version 19.0.0git (https://github.com/RadeonOpenCompute/llvm-project roc-6.4.0 25133 c7fe45cf4b819c5991fe208aaa96edf142730f1d)"
	.section	".note.GNU-stack","",@progbits
	.addrsig
	.addrsig_sym __hip_cuid_aaa107c4768e0ea8
	.amdgpu_metadata
---
amdhsa.kernels:
  - .args:
      - .actual_access:  read_only
        .address_space:  global
        .offset:         0
        .size:           8
        .value_kind:     global_buffer
      - .offset:         8
        .size:           8
        .value_kind:     by_value
      - .actual_access:  read_only
        .address_space:  global
        .offset:         16
        .size:           8
        .value_kind:     global_buffer
      - .actual_access:  read_only
        .address_space:  global
        .offset:         24
        .size:           8
        .value_kind:     global_buffer
      - .actual_access:  read_only
        .address_space:  global
        .offset:         32
        .size:           8
        .value_kind:     global_buffer
      - .offset:         40
        .size:           8
        .value_kind:     by_value
      - .actual_access:  read_only
        .address_space:  global
        .offset:         48
        .size:           8
        .value_kind:     global_buffer
      - .actual_access:  read_only
        .address_space:  global
        .offset:         56
        .size:           8
        .value_kind:     global_buffer
      - .offset:         64
        .size:           4
        .value_kind:     by_value
      - .actual_access:  read_only
        .address_space:  global
        .offset:         72
        .size:           8
        .value_kind:     global_buffer
      - .actual_access:  read_only
        .address_space:  global
        .offset:         80
        .size:           8
        .value_kind:     global_buffer
      - .actual_access:  read_only
        .address_space:  global
        .offset:         88
        .size:           8
        .value_kind:     global_buffer
      - .actual_access:  write_only
        .address_space:  global
        .offset:         96
        .size:           8
        .value_kind:     global_buffer
    .group_segment_fixed_size: 0
    .kernarg_segment_align: 8
    .kernarg_segment_size: 104
    .language:       OpenCL C
    .language_version:
      - 2
      - 0
    .max_flat_workgroup_size: 64
    .name:           fft_rtc_fwd_len44_factors_11_4_wgs_64_tpt_4_halfLds_sp_op_CI_CI_unitstride_sbrr_C2R_dirReg
    .private_segment_fixed_size: 0
    .sgpr_count:     29
    .sgpr_spill_count: 0
    .symbol:         fft_rtc_fwd_len44_factors_11_4_wgs_64_tpt_4_halfLds_sp_op_CI_CI_unitstride_sbrr_C2R_dirReg.kd
    .uniform_work_group_size: 1
    .uses_dynamic_stack: false
    .vgpr_count:     53
    .vgpr_spill_count: 0
    .wavefront_size: 32
    .workgroup_processor_mode: 1
amdhsa.target:   amdgcn-amd-amdhsa--gfx1030
amdhsa.version:
  - 1
  - 2
...

	.end_amdgpu_metadata
